;; amdgpu-corpus repo=ROCm/rocFFT kind=compiled arch=gfx950 opt=O3
	.text
	.amdgcn_target "amdgcn-amd-amdhsa--gfx950"
	.amdhsa_code_object_version 6
	.protected	bluestein_single_fwd_len28_dim1_sp_op_CI_CI ; -- Begin function bluestein_single_fwd_len28_dim1_sp_op_CI_CI
	.globl	bluestein_single_fwd_len28_dim1_sp_op_CI_CI
	.p2align	8
	.type	bluestein_single_fwd_len28_dim1_sp_op_CI_CI,@function
bluestein_single_fwd_len28_dim1_sp_op_CI_CI: ; @bluestein_single_fwd_len28_dim1_sp_op_CI_CI
; %bb.0:
	s_load_dwordx4 s[12:15], s[0:1], 0x28
	v_lshrrev_b32_e32 v1, 2, v0
	v_mov_b32_e32 v37, 0
	v_lshl_or_b32 v34, s2, 4, v1
	v_mov_b32_e32 v35, v37
	s_waitcnt lgkmcnt(0)
	v_cmp_gt_u64_e32 vcc, s[12:13], v[34:35]
	s_and_saveexec_b64 s[2:3], vcc
	s_cbranch_execz .LBB0_14
; %bb.1:
	s_load_dwordx4 s[4:7], s[0:1], 0x18
	s_load_dwordx4 s[8:11], s[0:1], 0x0
	v_and_b32_e32 v35, 3, v0
	v_mov_b32_e32 v2, s14
	v_mov_b32_e32 v3, s15
	s_waitcnt lgkmcnt(0)
	s_load_dwordx4 s[16:19], s[4:5], 0x0
	v_lshlrev_b32_e32 v36, 3, v35
	v_mul_u32_u24_e32 v49, 28, v1
	v_lshl_or_b32 v52, v49, 3, v36
	s_mov_b32 s12, 0x3d64c772
	s_waitcnt lgkmcnt(0)
	v_mad_u64_u32 v[4:5], s[2:3], s18, v34, 0
	v_mad_u64_u32 v[6:7], s[2:3], s16, v35, 0
	v_mov_b32_e32 v0, v5
	v_mad_u64_u32 v[8:9], s[2:3], s19, v34, v[0:1]
	v_mov_b32_e32 v0, v7
	v_mov_b32_e32 v5, v8
	v_mad_u64_u32 v[8:9], s[2:3], s17, v35, v[0:1]
	v_mov_b32_e32 v7, v8
	v_lshl_add_u64 v[2:3], v[4:5], 3, v[2:3]
	v_lshl_add_u64 v[2:3], v[6:7], 3, v[2:3]
	s_lshl_b64 s[2:3], s[16:17], 5
	global_load_dwordx2 v[32:33], v36, s[8:9]
	global_load_dwordx2 v[4:5], v[2:3], off
	v_lshl_add_u64 v[2:3], v[2:3], 0, s[2:3]
	global_load_dwordx2 v[6:7], v[2:3], off
	global_load_dwordx2 v[30:31], v36, s[8:9] offset:32
	v_lshl_add_u64 v[2:3], v[2:3], 0, s[2:3]
	global_load_dwordx2 v[26:27], v36, s[8:9] offset:64
	global_load_dwordx2 v[8:9], v[2:3], off
	v_lshl_add_u64 v[2:3], v[2:3], 0, s[2:3]
	global_load_dwordx2 v[10:11], v[2:3], off
	global_load_dwordx2 v[28:29], v36, s[8:9] offset:96
	v_lshl_add_u64 v[2:3], v[2:3], 0, s[2:3]
	global_load_dwordx2 v[12:13], v[2:3], off
	global_load_dwordx2 v[24:25], v36, s[8:9] offset:128
	;; [unrolled: 3-line block ×3, first 2 shown]
	global_load_dwordx2 v[20:21], v36, s[8:9] offset:192
	v_lshl_add_u64 v[2:3], v[2:3], 0, s[2:3]
	global_load_dwordx2 v[2:3], v[2:3], off
	v_or_b32_e32 v0, v49, v35
	v_lshlrev_b32_e32 v53, 3, v0
	s_load_dwordx4 s[4:7], s[6:7], 0x0
	s_mov_b32 s18, 0xbf08b237
	s_load_dwordx2 s[2:3], s[0:1], 0x38
	s_mov_b32 s0, 0xbf955555
	s_mov_b32 s14, 0x3f3bfb3b
	s_mov_b32 s20, 0x3f5ff5aa
	s_mov_b32 s16, 0x3ee1c552
	v_cmp_ne_u32_e32 vcc, 3, v35
	s_waitcnt vmcnt(12)
	v_mul_f32_e32 v0, v5, v33
	v_mul_f32_e32 v1, v4, v33
	v_fmac_f32_e32 v0, v4, v32
	v_fma_f32 v1, v5, v32, -v1
	s_waitcnt vmcnt(10)
	v_mul_f32_e32 v4, v7, v31
	v_mul_f32_e32 v5, v6, v31
	ds_write_b64 v53, v[0:1]
	s_waitcnt vmcnt(8)
	v_mul_f32_e32 v0, v9, v27
	v_mul_f32_e32 v1, v8, v27
	v_fmac_f32_e32 v4, v6, v30
	v_fma_f32 v5, v7, v30, -v5
	v_fmac_f32_e32 v0, v8, v26
	v_fma_f32 v1, v9, v26, -v1
	s_waitcnt vmcnt(6)
	v_mul_f32_e32 v6, v11, v29
	v_mul_f32_e32 v7, v10, v29
	ds_write2_b64 v52, v[4:5], v[0:1] offset0:4 offset1:8
	s_waitcnt vmcnt(4)
	v_mul_f32_e32 v0, v13, v25
	v_mul_f32_e32 v1, v12, v25
	v_fmac_f32_e32 v6, v10, v28
	v_fma_f32 v7, v11, v28, -v7
	v_fmac_f32_e32 v0, v12, v24
	v_fma_f32 v1, v13, v24, -v1
	s_waitcnt vmcnt(2)
	v_mul_f32_e32 v4, v15, v23
	v_mul_f32_e32 v5, v14, v23
	ds_write2_b64 v52, v[6:7], v[0:1] offset0:12 offset1:16
	s_waitcnt vmcnt(0)
	v_mul_f32_e32 v0, v3, v21
	v_mul_f32_e32 v1, v2, v21
	v_fmac_f32_e32 v4, v14, v22
	v_fma_f32 v5, v15, v22, -v5
	v_fmac_f32_e32 v0, v2, v20
	v_fma_f32 v1, v3, v20, -v1
	ds_write2_b64 v52, v[4:5], v[0:1] offset0:20 offset1:24
	s_waitcnt lgkmcnt(0)
	; wave barrier
	s_waitcnt lgkmcnt(0)
	ds_read2_b64 v[0:3], v52 offset0:4 offset1:8
	ds_read2_b64 v[4:7], v52 offset0:20 offset1:24
	ds_read_b64 v[12:13], v53
	ds_read2_b64 v[8:11], v52 offset0:12 offset1:16
	s_waitcnt lgkmcnt(0)
	; wave barrier
	s_waitcnt lgkmcnt(0)
	v_pk_add_f32 v[14:15], v[0:1], v[6:7]
	v_pk_add_f32 v[0:1], v[0:1], v[6:7] neg_lo:[0,1] neg_hi:[0,1]
	v_pk_add_f32 v[6:7], v[2:3], v[4:5]
	v_pk_add_f32 v[2:3], v[2:3], v[4:5] neg_lo:[0,1] neg_hi:[0,1]
	;; [unrolled: 2-line block ×4, first 2 shown]
	v_pk_add_f32 v[14:15], v[14:15], v[4:5] neg_lo:[0,1] neg_hi:[0,1]
	v_pk_add_f32 v[6:7], v[4:5], v[6:7] neg_lo:[0,1] neg_hi:[0,1]
	v_pk_add_f32 v[18:19], v[8:9], v[2:3] op_sel:[1,1] op_sel_hi:[0,0]
	v_pk_add_f32 v[38:39], v[8:9], v[2:3] op_sel:[1,1] op_sel_hi:[0,0] neg_lo:[0,1] neg_hi:[0,1]
	v_pk_add_f32 v[4:5], v[4:5], v[10:11]
	v_pk_add_f32 v[8:9], v[0:1], v[8:9] op_sel:[1,1] op_sel_hi:[0,0] neg_lo:[0,1] neg_hi:[0,1]
	v_pk_add_f32 v[2:3], v[2:3], v[0:1] op_sel:[1,1] op_sel_hi:[0,0] neg_lo:[0,1] neg_hi:[0,1]
	v_pk_add_f32 v[0:1], v[18:19], v[0:1] op_sel:[0,1] op_sel_hi:[1,0]
	v_pk_mul_f32 v[18:19], v[38:39], s[18:19] op_sel_hi:[1,0]
	v_pk_add_f32 v[38:39], v[12:13], v[4:5]
	v_pk_mul_f32 v[6:7], v[6:7], s[12:13] op_sel_hi:[1,0]
	v_pk_mul_f32 v[10:11], v[16:17], s[14:15] op_sel_hi:[1,0]
	v_pk_fma_f32 v[4:5], v[4:5], s[0:1], v[38:39] op_sel_hi:[1,0,1]
	s_mov_b32 s0, 0xbf4a47b2
	v_pk_mul_f32 v[12:13], v[2:3], s[20:21] op_sel_hi:[1,0]
	v_pk_fma_f32 v[16:17], v[16:17], s[14:15], v[6:7] op_sel_hi:[1,0,1] neg_lo:[0,0,1] neg_hi:[0,0,1]
	v_fmac_f32_e32 v7, 0x3f4a47b2, v15
	v_fma_f32 v43, v14, s0, -v10
	v_fma_f32 v11, v15, s0, -v11
	v_pk_fma_f32 v[2:3], v[2:3], s[20:21], v[18:19] op_sel_hi:[1,0,1] neg_lo:[0,0,1] neg_hi:[0,0,1]
	s_mov_b32 s0, 0xbeae86e6
	v_pk_mul_f32 v[40:41], v[0:1], s[16:17] op_sel_hi:[1,0]
	v_fmamk_f32 v42, v14, 0x3f4a47b2, v6
	v_fmamk_f32 v14, v9, 0x3eae86e6, v19
	v_fmac_f32_e32 v18, 0x3eae86e6, v8
	v_fma_f32 v15, v9, s0, -v13
	v_fma_f32 v19, v8, s0, -v12
	v_pk_add_f32 v[8:9], v[16:17], v[4:5]
	v_pk_fma_f32 v[2:3], v[0:1], s[16:17], v[2:3] op_sel_hi:[1,0,1]
	v_mov_b32_e32 v10, v7
	v_pk_add_f32 v[0:1], v[8:9], v[2:3] neg_lo:[0,1] neg_hi:[0,1]
	v_pk_add_f32 v[8:9], v[8:9], v[2:3]
	v_pk_add_f32 v[2:3], v[42:43], v[4:5] op_sel_hi:[1,0]
	v_pk_add_f32 v[16:17], v[40:41], v[18:19] op_sel_hi:[0,1]
	v_pk_add_f32 v[4:5], v[10:11], v[4:5] op_sel:[0,1]
	v_pk_add_f32 v[6:7], v[40:41], v[14:15] op_sel:[1,0]
	v_mul_u32_u24_e32 v10, 7, v35
	v_mov_b32_e32 v11, v4
	v_mov_b32_e32 v14, v16
	;; [unrolled: 1-line block ×3, first 2 shown]
	v_add_lshl_u32 v48, v49, v10, 3
	v_pk_add_f32 v[10:11], v[10:11], v[14:15] neg_lo:[0,1] neg_hi:[0,1]
	v_pk_add_f32 v[12:13], v[2:3], v[16:17] neg_lo:[0,1] neg_hi:[0,1]
	v_pk_add_f32 v[18:19], v[2:3], v[16:17]
	v_mov_b32_e32 v2, v17
	v_mov_b32_e32 v10, v3
	v_pk_add_f32 v[42:43], v[6:7], v[4:5]
	v_pk_add_f32 v[2:3], v[2:3], v[10:11]
	v_pk_add_f32 v[4:5], v[4:5], v[6:7] neg_lo:[0,1] neg_hi:[0,1]
	v_mov_b32_e32 v19, v11
	v_mov_b32_e32 v3, v5
	;; [unrolled: 1-line block ×4, first 2 shown]
	ds_write2_b64 v48, v[2:3], v[4:5] offset0:2 offset1:3
	v_mov_b32_e32 v9, v1
	v_mov_b32_e32 v2, v13
	;; [unrolled: 1-line block ×3, first 2 shown]
	ds_write2_b64 v48, v[8:9], v[2:3] offset0:4 offset1:5
	v_mov_b32_e32 v2, v12
	v_mov_b32_e32 v3, v42
	ds_write2_b64 v48, v[38:39], v[18:19] offset1:1
	ds_write_b64 v48, v[2:3] offset:48
	s_waitcnt lgkmcnt(0)
	; wave barrier
	s_waitcnt lgkmcnt(0)
	ds_read2_b64 v[16:19], v52 offset0:7 offset1:14
	ds_read_b64 v[44:45], v53
	ds_read_b64 v[46:47], v52 offset:168
	v_cmp_eq_u32_e64 s[0:1], 3, v35
	s_and_saveexec_b64 s[12:13], vcc
	s_xor_b64 s[12:13], exec, s[12:13]
	s_cbranch_execz .LBB0_3
; %bb.2:
	ds_read2_b64 v[12:15], v52 offset0:18 offset1:25
	ds_read2_b64 v[8:11], v52 offset0:4 offset1:11
                                        ; implicit-def: $vgpr0_vgpr1
	s_waitcnt lgkmcnt(1)
	v_mov_b32_e32 v42, v13
	s_waitcnt lgkmcnt(0)
	v_mov_b32_e32 v43, v11
	v_mov_b32_e32 v13, v10
.LBB0_3:
	s_andn2_saveexec_b64 s[12:13], s[12:13]
; %bb.4:
	v_mov_b32_e32 v9, v1
; %bb.5:
	s_or_b64 exec, exec, s[12:13]
	v_mad_u64_u32 v[0:1], s[12:13], v35, 24, s[10:11]
	global_load_dwordx4 v[4:7], v[0:1], off
	global_load_dwordx2 v[40:41], v[0:1], off offset:16
	v_or_b32_e32 v0, 4, v35
	v_mul_hi_u32_u24_e32 v1, 3, v0
	v_mul_u32_u24_e32 v0, 3, v0
	v_cndmask_b32_e64 v1, v1, 0, s[0:1]
	v_cndmask_b32_e64 v0, v0, 0, s[0:1]
	v_lshl_add_u64 v[10:11], v[0:1], 3, s[10:11]
	global_load_dwordx4 v[0:3], v[10:11], off
	global_load_dwordx2 v[38:39], v[10:11], off offset:16
	v_mov_b32_e32 v50, v15
	v_lshl_add_u64 v[10:11], s[8:9], 0, v[36:37]
	s_waitcnt vmcnt(3) lgkmcnt(2)
	v_pk_mul_f32 v[54:55], v[16:17], v[4:5] op_sel:[0,1]
	v_mov_b32_e32 v56, v7
	s_waitcnt vmcnt(2) lgkmcnt(0)
	v_pk_mul_f32 v[58:59], v[46:47], v[40:41] op_sel:[0,1]
	v_pk_fma_f32 v[60:61], v[16:17], v[4:5], v[54:55] op_sel:[0,0,1] op_sel_hi:[1,1,0] neg_lo:[0,0,1] neg_hi:[0,0,1]
	v_pk_fma_f32 v[16:17], v[16:17], v[4:5], v[54:55] op_sel:[0,0,1] op_sel_hi:[1,0,0]
	v_pk_mul_f32 v[54:55], v[18:19], v[56:57] op_sel_hi:[1,0]
	v_pk_fma_f32 v[56:57], v[46:47], v[40:41], v[58:59] op_sel:[0,0,1] op_sel_hi:[1,1,0] neg_lo:[0,0,1] neg_hi:[0,0,1]
	v_pk_fma_f32 v[46:47], v[46:47], v[40:41], v[58:59] op_sel:[0,0,1] op_sel_hi:[1,0,0]
	v_mov_b32_e32 v61, v17
	v_pk_fma_f32 v[16:17], v[18:19], v[6:7], v[54:55] op_sel:[0,0,1] op_sel_hi:[1,1,0] neg_lo:[0,0,1] neg_hi:[0,0,1]
	v_pk_fma_f32 v[18:19], v[18:19], v[6:7], v[54:55] op_sel:[0,0,1] op_sel_hi:[1,0,0]
	v_mov_b32_e32 v57, v47
	s_waitcnt vmcnt(1)
	v_pk_mul_f32 v[46:47], v[12:13], v[0:1] op_sel:[1,0]
	v_pk_mul_f32 v[54:55], v[42:43], v[2:3] op_sel_hi:[0,1]
	s_waitcnt vmcnt(0)
	v_pk_mul_f32 v[58:59], v[14:15], v[38:39] op_sel_hi:[0,1]
	v_mov_b32_e32 v17, v19
	v_pk_fma_f32 v[62:63], v[42:43], v[0:1], v[46:47] op_sel:[0,0,1] op_sel_hi:[1,1,0] neg_lo:[1,0,0] neg_hi:[1,0,0]
	v_pk_fma_f32 v[18:19], v[42:43], v[0:1], v[46:47] op_sel:[1,0,1] op_sel_hi:[1,1,0]
	v_pk_fma_f32 v[42:43], v[12:13], v[2:3], v[54:55] op_sel:[0,0,1] op_sel_hi:[0,1,0]
	v_pk_fma_f32 v[12:13], v[12:13], v[2:3], v[54:55] op_sel:[0,0,1] op_sel_hi:[0,1,0] neg_lo:[0,0,1] neg_hi:[0,0,1]
	v_pk_fma_f32 v[14:15], v[14:15], v[38:39], v[58:59] op_sel:[0,0,1] op_sel_hi:[1,1,0] neg_lo:[1,0,0] neg_hi:[1,0,0]
	v_pk_fma_f32 v[46:47], v[50:51], v[38:39], v[58:59] op_sel:[0,0,1] op_sel_hi:[0,1,0]
	v_pk_add_f32 v[56:57], v[60:61], v[56:57] neg_lo:[0,1] neg_hi:[0,1]
	v_pk_add_f32 v[50:51], v[44:45], v[16:17] neg_lo:[0,1] neg_hi:[0,1]
	v_mov_b32_e32 v19, v63
	v_mov_b32_e32 v13, v43
	;; [unrolled: 1-line block ×3, first 2 shown]
	v_pk_fma_f32 v[16:17], v[60:61], 2.0, v[56:57] op_sel_hi:[1,0,1] neg_lo:[0,0,1] neg_hi:[0,0,1]
	v_pk_fma_f32 v[42:43], v[44:45], 2.0, v[50:51] op_sel_hi:[1,0,1] neg_lo:[0,0,1] neg_hi:[0,0,1]
	v_pk_add_f32 v[44:45], v[50:51], v[56:57] op_sel:[0,1] op_sel_hi:[1,0] neg_lo:[0,1] neg_hi:[0,1]
	v_pk_add_f32 v[54:55], v[50:51], v[56:57] op_sel:[0,1] op_sel_hi:[1,0]
	v_pk_add_f32 v[12:13], v[8:9], v[12:13] neg_lo:[0,1] neg_hi:[0,1]
	v_pk_add_f32 v[14:15], v[18:19], v[46:47] neg_lo:[0,1] neg_hi:[0,1]
	;; [unrolled: 1-line block ×3, first 2 shown]
	v_mov_b32_e32 v45, v55
	v_pk_add_f32 v[54:55], v[12:13], v[14:15]
	v_pk_add_f32 v[16:17], v[12:13], v[14:15] neg_lo:[0,1] neg_hi:[0,1]
	v_pk_fma_f32 v[42:43], v[42:43], 2.0, v[46:47] op_sel_hi:[1,0,1] neg_lo:[0,0,1] neg_hi:[0,0,1]
	v_mov_b32_e32 v17, v55
	v_pk_fma_f32 v[50:51], v[50:51], 2.0, v[44:45] op_sel_hi:[1,0,1] neg_lo:[0,0,1] neg_hi:[0,0,1]
	ds_write_b64 v53, v[42:43]
	ds_write2_b64 v52, v[50:51], v[46:47] offset0:7 offset1:14
	ds_write_b64 v52, v[44:45] offset:168
	s_and_saveexec_b64 s[0:1], vcc
	s_cbranch_execz .LBB0_7
; %bb.6:
	v_pk_fma_f32 v[8:9], v[8:9], 2.0, v[12:13] op_sel_hi:[1,0,1] neg_lo:[0,0,1] neg_hi:[0,0,1]
	v_pk_fma_f32 v[14:15], v[18:19], 2.0, v[14:15] op_sel_hi:[1,0,1] neg_lo:[0,0,1] neg_hi:[0,0,1]
	;; [unrolled: 1-line block ×3, first 2 shown]
	v_pk_add_f32 v[14:15], v[8:9], v[14:15] op_sel:[0,1] op_sel_hi:[1,0] neg_lo:[0,1] neg_hi:[0,1]
	s_nop 0
	v_pk_fma_f32 v[8:9], v[8:9], 2.0, v[14:15] op_sel_hi:[1,0,1] neg_lo:[0,0,1] neg_hi:[0,0,1]
	ds_write2_b64 v52, v[8:9], v[12:13] offset0:4 offset1:11
	ds_write2_b64 v52, v[14:15], v[16:17] offset0:18 offset1:25
.LBB0_7:
	s_or_b64 exec, exec, s[0:1]
	s_waitcnt lgkmcnt(0)
	; wave barrier
	s_waitcnt lgkmcnt(0)
	global_load_dwordx2 v[8:9], v[10:11], off offset:224
	s_add_u32 s0, s8, 0xe0
	s_addc_u32 s1, s9, 0
	global_load_dwordx2 v[18:19], v36, s[0:1] offset:32
	global_load_dwordx2 v[42:43], v36, s[0:1] offset:64
	global_load_dwordx2 v[44:45], v36, s[0:1] offset:96
	global_load_dwordx2 v[46:47], v36, s[0:1] offset:128
	global_load_dwordx2 v[50:51], v36, s[0:1] offset:160
	global_load_dwordx2 v[56:57], v36, s[0:1] offset:192
	ds_read_b64 v[10:11], v53
	v_lshl_add_u32 v54, v49, 3, v36
	s_mov_b32 s10, 0x3d64c772
	s_mov_b32 s12, 0x3f3bfb3b
	;; [unrolled: 1-line block ×8, first 2 shown]
	s_waitcnt vmcnt(6) lgkmcnt(0)
	v_mul_f32_e32 v12, v11, v9
	v_mul_f32_e32 v13, v10, v9
	v_fma_f32 v12, v10, v8, -v12
	v_fmac_f32_e32 v13, v11, v8
	ds_write_b64 v53, v[12:13]
	ds_read_b64 v[36:37], v54 offset:32
	ds_read2_b64 v[8:11], v52 offset0:8 offset1:12
	ds_read2_b64 v[12:15], v52 offset0:16 offset1:20
	ds_read_b64 v[58:59], v52 offset:192
	s_waitcnt vmcnt(4) lgkmcnt(2)
	v_mul_f32_e32 v55, v9, v43
	v_mul_f32_e32 v49, v37, v19
	v_mul_f32_e32 v61, v36, v19
	v_mul_f32_e32 v19, v8, v43
	s_waitcnt vmcnt(3)
	v_mul_f32_e32 v62, v11, v45
	v_mul_f32_e32 v43, v10, v45
	s_waitcnt vmcnt(2) lgkmcnt(1)
	v_mul_f32_e32 v63, v13, v47
	v_mul_f32_e32 v45, v12, v47
	s_waitcnt vmcnt(1)
	v_mul_f32_e32 v64, v15, v51
	v_mul_f32_e32 v47, v14, v51
	s_waitcnt vmcnt(0) lgkmcnt(0)
	v_mul_f32_e32 v65, v59, v57
	v_mul_f32_e32 v51, v58, v57
	v_fma_f32 v60, v36, v18, -v49
	v_fmac_f32_e32 v61, v37, v18
	v_fma_f32 v18, v8, v42, -v55
	v_fmac_f32_e32 v19, v9, v42
	;; [unrolled: 2-line block ×6, first 2 shown]
	ds_write_b64 v54, v[60:61] offset:32
	ds_write2_b64 v52, v[18:19], v[42:43] offset0:8 offset1:12
	ds_write2_b64 v52, v[44:45], v[46:47] offset0:16 offset1:20
	ds_write_b64 v52, v[50:51] offset:192
	s_waitcnt lgkmcnt(0)
	; wave barrier
	s_waitcnt lgkmcnt(0)
	ds_read_b64 v[18:19], v53
	ds_read_b64 v[36:37], v54 offset:32
	ds_read_b64 v[42:43], v52 offset:192
	ds_read2_b64 v[8:11], v52 offset0:8 offset1:12
	ds_read2_b64 v[12:15], v52 offset0:16 offset1:20
	s_waitcnt lgkmcnt(0)
	; wave barrier
	s_waitcnt lgkmcnt(0)
	v_pk_add_f32 v[44:45], v[36:37], v[42:43]
	v_pk_add_f32 v[36:37], v[36:37], v[42:43] neg_lo:[0,1] neg_hi:[0,1]
	v_pk_add_f32 v[42:43], v[8:9], v[14:15]
	v_pk_add_f32 v[8:9], v[8:9], v[14:15] neg_lo:[0,1] neg_hi:[0,1]
	;; [unrolled: 2-line block ×4, first 2 shown]
	v_pk_add_f32 v[42:43], v[14:15], v[42:43] neg_lo:[0,1] neg_hi:[0,1]
	v_pk_add_f32 v[50:51], v[10:11], v[8:9] op_sel:[1,1] op_sel_hi:[0,0]
	v_pk_add_f32 v[44:45], v[44:45], v[14:15] neg_lo:[0,1] neg_hi:[0,1]
	v_pk_add_f32 v[56:57], v[10:11], v[8:9] op_sel:[1,1] op_sel_hi:[0,0] neg_lo:[0,1] neg_hi:[0,1]
	v_pk_add_f32 v[10:11], v[36:37], v[10:11] op_sel:[1,1] op_sel_hi:[0,0] neg_lo:[0,1] neg_hi:[0,1]
	v_pk_add_f32 v[8:9], v[8:9], v[36:37] op_sel:[1,1] op_sel_hi:[0,0] neg_lo:[0,1] neg_hi:[0,1]
	v_pk_add_f32 v[12:13], v[14:15], v[12:13]
	v_pk_add_f32 v[14:15], v[50:51], v[36:37] op_sel:[0,1] op_sel_hi:[1,0]
	v_pk_mul_f32 v[36:37], v[42:43], s[10:11] op_sel_hi:[1,0]
	v_pk_mul_f32 v[42:43], v[46:47], s[12:13] op_sel_hi:[1,0]
	;; [unrolled: 1-line block ×4, first 2 shown]
	v_pk_add_f32 v[58:59], v[18:19], v[12:13]
	v_pk_fma_f32 v[18:19], v[46:47], s[12:13], v[36:37] op_sel_hi:[1,0,1] neg_lo:[0,0,1] neg_hi:[0,0,1]
	v_fmac_f32_e32 v37, 0x3f4a47b2, v45
	v_pk_mul_f32 v[60:61], v[14:15], s[8:9] op_sel_hi:[1,0]
	v_fmamk_f32 v62, v44, 0x3f4a47b2, v36
	v_fma_f32 v63, v44, s1, -v42
	v_fma_f32 v43, v45, s1, -v43
	v_fmamk_f32 v44, v11, 0xbeae86e6, v51
	v_pk_fma_f32 v[8:9], v[8:9], s[16:17], v[50:51] op_sel_hi:[1,0,1] neg_lo:[0,0,1] neg_hi:[0,0,1]
	v_fmac_f32_e32 v50, 0xbeae86e6, v10
	v_fma_f32 v45, v11, s9, -v57
	v_fma_f32 v51, v10, s9, -v56
	v_pk_fma_f32 v[12:13], v[12:13], s[0:1], v[58:59] op_sel_hi:[1,0,1]
	v_mov_b32_e32 v42, v37
	v_pk_fma_f32 v[8:9], v[14:15], s[8:9], v[8:9] op_sel_hi:[1,0,1]
	v_pk_add_f32 v[10:11], v[18:19], v[12:13]
	v_pk_add_f32 v[14:15], v[62:63], v[12:13] op_sel_hi:[1,0]
	v_pk_add_f32 v[46:47], v[60:61], v[50:51] op_sel_hi:[0,1]
	v_pk_add_f32 v[12:13], v[42:43], v[12:13] op_sel:[0,1]
	v_pk_add_f32 v[42:43], v[60:61], v[44:45] op_sel:[1,0]
	v_mov_b32_e32 v45, v12
	v_mov_b32_e32 v50, v46
	;; [unrolled: 1-line block ×3, first 2 shown]
	v_pk_add_f32 v[44:45], v[44:45], v[50:51] neg_lo:[0,1] neg_hi:[0,1]
	v_pk_add_f32 v[18:19], v[10:11], v[8:9]
	v_pk_add_f32 v[8:9], v[10:11], v[8:9] neg_lo:[0,1] neg_hi:[0,1]
	v_pk_add_f32 v[10:11], v[14:15], v[46:47] neg_lo:[0,1] neg_hi:[0,1]
	v_pk_add_f32 v[56:57], v[14:15], v[46:47]
	v_mov_b32_e32 v14, v47
	v_mov_b32_e32 v44, v15
	v_pk_add_f32 v[36:37], v[42:43], v[12:13]
	v_pk_add_f32 v[14:15], v[14:15], v[44:45]
	v_pk_add_f32 v[12:13], v[12:13], v[42:43] neg_lo:[0,1] neg_hi:[0,1]
	v_mov_b32_e32 v57, v45
	v_mov_b32_e32 v15, v13
	;; [unrolled: 1-line block ×4, first 2 shown]
	ds_write2_b64 v48, v[14:15], v[12:13] offset0:2 offset1:3
	v_mov_b32_e32 v19, v9
	v_mov_b32_e32 v12, v11
	;; [unrolled: 1-line block ×3, first 2 shown]
	ds_write2_b64 v48, v[18:19], v[12:13] offset0:4 offset1:5
	v_mov_b32_e32 v12, v10
	v_mov_b32_e32 v13, v36
	ds_write2_b64 v48, v[58:59], v[56:57] offset1:1
	ds_write_b64 v48, v[12:13] offset:48
	s_waitcnt lgkmcnt(0)
	; wave barrier
	s_waitcnt lgkmcnt(0)
	ds_read2_b64 v[12:15], v52 offset0:7 offset1:14
	ds_read_b64 v[42:43], v53
	ds_read_b64 v[44:45], v52 offset:168
	s_and_saveexec_b64 s[0:1], vcc
	s_xor_b64 s[0:1], exec, s[0:1]
	s_cbranch_execz .LBB0_9
; %bb.8:
	ds_read2_b64 v[8:11], v52 offset0:11 offset1:18
	ds_read_b64 v[18:19], v54 offset:32
	ds_read_b64 v[16:17], v52 offset:200
	s_waitcnt lgkmcnt(2)
	v_mov_b32_e32 v36, v11
	v_mov_b32_e32 v37, v9
	;; [unrolled: 1-line block ×3, first 2 shown]
                                        ; implicit-def: $vgpr8_vgpr9
.LBB0_9:
	s_or_saveexec_b64 s[0:1], s[0:1]
	v_mov_b32_e32 v50, v4
	v_mov_b32_e32 v51, v4
	;; [unrolled: 1-line block ×9, first 2 shown]
	s_xor_b64 exec, exec, s[0:1]
	s_cbranch_execz .LBB0_11
; %bb.10:
	s_waitcnt lgkmcnt(1)
	v_mov_b32_e32 v19, v9
.LBB0_11:
	s_or_b64 exec, exec, s[0:1]
	s_waitcnt lgkmcnt(2)
	v_pk_mul_f32 v[4:5], v[4:5], v[12:13]
	v_pk_mul_f32 v[6:7], v[6:7], v[14:15]
	s_waitcnt lgkmcnt(0)
	v_pk_mul_f32 v[8:9], v[40:41], v[44:45]
	v_pk_fma_f32 v[40:41], v[50:51], v[12:13], v[4:5] op_sel:[0,0,1] op_sel_hi:[1,1,0]
	v_pk_fma_f32 v[4:5], v[50:51], v[12:13], v[4:5] op_sel:[0,0,1] op_sel_hi:[1,1,0] neg_lo:[0,0,1] neg_hi:[0,0,1]
	s_nop 0
	v_mov_b32_e32 v41, v5
	v_pk_fma_f32 v[4:5], v[48:49], v[14:15], v[6:7] op_sel:[0,0,1] op_sel_hi:[1,1,0]
	v_pk_fma_f32 v[6:7], v[48:49], v[14:15], v[6:7] op_sel:[0,0,1] op_sel_hi:[1,1,0] neg_lo:[0,0,1] neg_hi:[0,0,1]
	s_nop 0
	v_mov_b32_e32 v5, v7
	v_pk_fma_f32 v[6:7], v[46:47], v[44:45], v[8:9] op_sel:[0,0,1] op_sel_hi:[1,1,0]
	v_pk_fma_f32 v[8:9], v[46:47], v[44:45], v[8:9] op_sel:[0,0,1] op_sel_hi:[1,1,0] neg_lo:[0,0,1] neg_hi:[0,0,1]
	v_pk_add_f32 v[4:5], v[42:43], v[4:5] neg_lo:[0,1] neg_hi:[0,1]
	v_mov_b32_e32 v7, v9
	v_pk_add_f32 v[6:7], v[40:41], v[6:7] neg_lo:[0,1] neg_hi:[0,1]
	v_pk_fma_f32 v[8:9], v[42:43], 2.0, v[4:5] op_sel_hi:[1,0,1] neg_lo:[0,0,1] neg_hi:[0,0,1]
	v_pk_fma_f32 v[12:13], v[40:41], 2.0, v[6:7] op_sel_hi:[1,0,1] neg_lo:[0,0,1] neg_hi:[0,0,1]
	s_nop 0
	v_pk_add_f32 v[12:13], v[8:9], v[12:13] neg_lo:[0,1] neg_hi:[0,1]
	s_nop 0
	v_pk_fma_f32 v[8:9], v[8:9], 2.0, v[12:13] op_sel_hi:[1,0,1] neg_lo:[0,0,1] neg_hi:[0,0,1]
	ds_write_b64 v53, v[8:9]
	v_pk_add_f32 v[8:9], v[4:5], v[6:7] op_sel:[0,1] op_sel_hi:[1,0]
	v_pk_add_f32 v[6:7], v[4:5], v[6:7] op_sel:[0,1] op_sel_hi:[1,0] neg_lo:[0,1] neg_hi:[0,1]
	s_nop 0
	v_mov_b32_e32 v9, v7
	v_pk_fma_f32 v[4:5], v[4:5], 2.0, v[8:9] op_sel_hi:[1,0,1] neg_lo:[0,0,1] neg_hi:[0,0,1]
	ds_write2_b64 v52, v[4:5], v[12:13] offset0:7 offset1:14
	ds_write_b64 v52, v[8:9] offset:168
	s_and_saveexec_b64 s[0:1], vcc
	s_cbranch_execz .LBB0_13
; %bb.12:
	v_pk_mul_f32 v[4:5], v[2:3], v[36:37] op_sel_hi:[1,0]
	v_pk_mul_f32 v[6:7], v[0:1], v[36:37] op_sel:[0,1]
	v_mov_b32_e32 v8, v17
	v_pk_mul_f32 v[8:9], v[38:39], v[8:9] op_sel_hi:[1,0]
	v_pk_fma_f32 v[12:13], v[2:3], v[10:11], v[4:5] op_sel:[0,0,1] op_sel_hi:[1,1,0]
	v_pk_fma_f32 v[2:3], v[2:3], v[10:11], v[4:5] op_sel:[0,0,1] op_sel_hi:[1,0,0] neg_lo:[1,0,0] neg_hi:[1,0,0]
	v_pk_fma_f32 v[4:5], v[0:1], v[10:11], v[6:7] op_sel:[0,1,1] op_sel_hi:[1,1,0]
	v_pk_fma_f32 v[0:1], v[0:1], v[10:11], v[6:7] op_sel:[0,1,1] op_sel_hi:[1,1,0] neg_lo:[1,0,0] neg_hi:[1,0,0]
	v_pk_fma_f32 v[6:7], v[38:39], v[16:17], v[8:9] op_sel:[0,0,1] op_sel_hi:[1,0,0] neg_lo:[1,0,0] neg_hi:[1,0,0]
	v_mov_b32_e32 v5, v1
	v_pk_fma_f32 v[0:1], v[38:39], v[16:17], v[8:9] op_sel:[0,0,1] op_sel_hi:[1,1,0]
	v_mov_b32_e32 v13, v3
	v_mov_b32_e32 v1, v7
	v_pk_add_f32 v[2:3], v[18:19], v[12:13] neg_lo:[0,1] neg_hi:[0,1]
	v_pk_add_f32 v[0:1], v[4:5], v[0:1] neg_lo:[0,1] neg_hi:[0,1]
	v_pk_fma_f32 v[6:7], v[18:19], 2.0, v[2:3] op_sel_hi:[1,0,1] neg_lo:[0,0,1] neg_hi:[0,0,1]
	v_pk_fma_f32 v[4:5], v[4:5], 2.0, v[0:1] op_sel_hi:[1,0,1] neg_lo:[0,0,1] neg_hi:[0,0,1]
	s_nop 0
	v_pk_add_f32 v[4:5], v[6:7], v[4:5] neg_lo:[0,1] neg_hi:[0,1]
	s_nop 0
	v_pk_fma_f32 v[6:7], v[6:7], 2.0, v[4:5] op_sel_hi:[1,0,1] neg_lo:[0,0,1] neg_hi:[0,0,1]
	ds_write_b64 v54, v[6:7] offset:32
	v_pk_add_f32 v[6:7], v[2:3], v[0:1] op_sel:[0,1] op_sel_hi:[1,0]
	v_pk_add_f32 v[0:1], v[2:3], v[0:1] op_sel:[0,1] op_sel_hi:[1,0] neg_lo:[0,1] neg_hi:[0,1]
	s_nop 0
	v_mov_b32_e32 v7, v1
	v_pk_fma_f32 v[0:1], v[2:3], 2.0, v[6:7] op_sel_hi:[1,0,1] neg_lo:[0,0,1] neg_hi:[0,0,1]
	ds_write2_b64 v52, v[0:1], v[4:5] offset0:11 offset1:18
	ds_write_b64 v52, v[6:7] offset:200
.LBB0_13:
	s_or_b64 exec, exec, s[0:1]
	s_waitcnt lgkmcnt(0)
	; wave barrier
	s_waitcnt lgkmcnt(0)
	ds_read_b64 v[6:7], v53
	v_mad_u64_u32 v[2:3], s[0:1], s6, v34, 0
	v_mov_b32_e32 v4, v3
	v_mad_u64_u32 v[4:5], s[0:1], s7, v34, v[4:5]
	s_waitcnt lgkmcnt(0)
	v_mul_f32_e32 v10, v33, v7
	v_fmac_f32_e32 v10, v32, v6
	v_mul_f32_e32 v6, v33, v6
	s_mov_b32 s0, 0x92492492
	v_fma_f32 v6, v32, v7, -v6
	v_cvt_f64_f32_e32 v[10:11], v10
	s_mov_b32 s1, 0x3fa24924
	v_cvt_f64_f32_e32 v[6:7], v6
	v_mul_f64 v[10:11], v[10:11], s[0:1]
	v_mul_f64 v[6:7], v[6:7], s[0:1]
	v_mov_b32_e32 v0, s2
	v_mov_b32_e32 v1, s3
	;; [unrolled: 1-line block ×3, first 2 shown]
	ds_read_b64 v[4:5], v54 offset:32
	ds_read_b64 v[8:9], v52 offset:192
	v_cvt_f32_f64_e32 v10, v[10:11]
	v_cvt_f32_f64_e32 v11, v[6:7]
	v_mad_u64_u32 v[6:7], s[2:3], s4, v35, 0
	v_mov_b32_e32 v12, v7
	v_mad_u64_u32 v[12:13], s[2:3], s5, v35, v[12:13]
	v_mov_b32_e32 v7, v12
	v_lshl_add_u64 v[0:1], v[2:3], 3, v[0:1]
	v_lshl_add_u64 v[6:7], v[6:7], 3, v[0:1]
	s_waitcnt lgkmcnt(1)
	v_mul_f32_e32 v0, v31, v5
	v_fmac_f32_e32 v0, v30, v4
	v_cvt_f64_f32_e32 v[0:1], v0
	v_mul_f64 v[0:1], v[0:1], s[0:1]
	global_store_dwordx2 v[6:7], v[10:11], off
	v_cvt_f32_f64_e32 v10, v[0:1]
	v_mul_f32_e32 v0, v31, v4
	v_fma_f32 v0, v30, v5, -v0
	v_cvt_f64_f32_e32 v[0:1], v0
	v_mul_f64 v[4:5], v[0:1], s[0:1]
	ds_read2_b64 v[0:3], v52 offset0:8 offset1:12
	s_lshl_b64 s[2:3], s[4:5], 5
	v_cvt_f32_f64_e32 v11, v[4:5]
	v_lshl_add_u64 v[4:5], v[6:7], 0, s[2:3]
	global_store_dwordx2 v[4:5], v[10:11], off
	s_waitcnt lgkmcnt(0)
	v_mul_f32_e32 v6, v27, v1
	v_fmac_f32_e32 v6, v26, v0
	v_mul_f32_e32 v0, v27, v0
	v_fma_f32 v0, v26, v1, -v0
	v_cvt_f64_f32_e32 v[6:7], v6
	v_cvt_f64_f32_e32 v[0:1], v0
	v_mul_f64 v[6:7], v[6:7], s[0:1]
	v_mul_f64 v[0:1], v[0:1], s[0:1]
	v_cvt_f32_f64_e32 v6, v[6:7]
	v_cvt_f32_f64_e32 v7, v[0:1]
	v_mul_f32_e32 v0, v29, v3
	v_fmac_f32_e32 v0, v28, v2
	v_cvt_f64_f32_e32 v[0:1], v0
	v_lshl_add_u64 v[4:5], v[4:5], 0, s[2:3]
	v_mul_f64 v[0:1], v[0:1], s[0:1]
	global_store_dwordx2 v[4:5], v[6:7], off
	v_cvt_f32_f64_e32 v6, v[0:1]
	v_mul_f32_e32 v0, v29, v2
	v_fma_f32 v0, v28, v3, -v0
	v_cvt_f64_f32_e32 v[10:11], v0
	ds_read2_b64 v[0:3], v52 offset0:16 offset1:20
	v_mul_f64 v[10:11], v[10:11], s[0:1]
	v_cvt_f32_f64_e32 v7, v[10:11]
	v_lshl_add_u64 v[4:5], v[4:5], 0, s[2:3]
	global_store_dwordx2 v[4:5], v[6:7], off
	s_waitcnt lgkmcnt(0)
	v_mul_f32_e32 v6, v25, v1
	v_fmac_f32_e32 v6, v24, v0
	v_mul_f32_e32 v0, v25, v0
	v_fma_f32 v0, v24, v1, -v0
	v_cvt_f64_f32_e32 v[6:7], v6
	v_cvt_f64_f32_e32 v[0:1], v0
	v_mul_f64 v[6:7], v[6:7], s[0:1]
	v_mul_f64 v[0:1], v[0:1], s[0:1]
	v_cvt_f32_f64_e32 v6, v[6:7]
	v_cvt_f32_f64_e32 v7, v[0:1]
	v_lshl_add_u64 v[0:1], v[4:5], 0, s[2:3]
	v_mul_f32_e32 v4, v23, v3
	v_fmac_f32_e32 v4, v22, v2
	v_mul_f32_e32 v2, v23, v2
	v_fma_f32 v2, v22, v3, -v2
	v_cvt_f64_f32_e32 v[4:5], v4
	v_cvt_f64_f32_e32 v[2:3], v2
	v_mul_f64 v[4:5], v[4:5], s[0:1]
	v_mul_f64 v[2:3], v[2:3], s[0:1]
	v_cvt_f32_f64_e32 v4, v[4:5]
	v_cvt_f32_f64_e32 v5, v[2:3]
	v_mul_f32_e32 v2, v21, v9
	v_fmac_f32_e32 v2, v20, v8
	v_cvt_f64_f32_e32 v[2:3], v2
	v_mul_f64 v[2:3], v[2:3], s[0:1]
	v_cvt_f32_f64_e32 v2, v[2:3]
	v_mul_f32_e32 v3, v21, v8
	global_store_dwordx2 v[0:1], v[6:7], off
	v_lshl_add_u64 v[0:1], v[0:1], 0, s[2:3]
	v_fma_f32 v3, v20, v9, -v3
	global_store_dwordx2 v[0:1], v[4:5], off
	v_cvt_f64_f32_e32 v[4:5], v3
	v_mul_f64 v[4:5], v[4:5], s[0:1]
	v_cvt_f32_f64_e32 v3, v[4:5]
	v_lshl_add_u64 v[0:1], v[0:1], 0, s[2:3]
	global_store_dwordx2 v[0:1], v[2:3], off
.LBB0_14:
	s_endpgm
	.section	.rodata,"a",@progbits
	.p2align	6, 0x0
	.amdhsa_kernel bluestein_single_fwd_len28_dim1_sp_op_CI_CI
		.amdhsa_group_segment_fixed_size 3584
		.amdhsa_private_segment_fixed_size 0
		.amdhsa_kernarg_size 104
		.amdhsa_user_sgpr_count 2
		.amdhsa_user_sgpr_dispatch_ptr 0
		.amdhsa_user_sgpr_queue_ptr 0
		.amdhsa_user_sgpr_kernarg_segment_ptr 1
		.amdhsa_user_sgpr_dispatch_id 0
		.amdhsa_user_sgpr_kernarg_preload_length 0
		.amdhsa_user_sgpr_kernarg_preload_offset 0
		.amdhsa_user_sgpr_private_segment_size 0
		.amdhsa_uses_dynamic_stack 0
		.amdhsa_enable_private_segment 0
		.amdhsa_system_sgpr_workgroup_id_x 1
		.amdhsa_system_sgpr_workgroup_id_y 0
		.amdhsa_system_sgpr_workgroup_id_z 0
		.amdhsa_system_sgpr_workgroup_info 0
		.amdhsa_system_vgpr_workitem_id 0
		.amdhsa_next_free_vgpr 66
		.amdhsa_next_free_sgpr 22
		.amdhsa_accum_offset 68
		.amdhsa_reserve_vcc 1
		.amdhsa_float_round_mode_32 0
		.amdhsa_float_round_mode_16_64 0
		.amdhsa_float_denorm_mode_32 3
		.amdhsa_float_denorm_mode_16_64 3
		.amdhsa_dx10_clamp 1
		.amdhsa_ieee_mode 1
		.amdhsa_fp16_overflow 0
		.amdhsa_tg_split 0
		.amdhsa_exception_fp_ieee_invalid_op 0
		.amdhsa_exception_fp_denorm_src 0
		.amdhsa_exception_fp_ieee_div_zero 0
		.amdhsa_exception_fp_ieee_overflow 0
		.amdhsa_exception_fp_ieee_underflow 0
		.amdhsa_exception_fp_ieee_inexact 0
		.amdhsa_exception_int_div_zero 0
	.end_amdhsa_kernel
	.text
.Lfunc_end0:
	.size	bluestein_single_fwd_len28_dim1_sp_op_CI_CI, .Lfunc_end0-bluestein_single_fwd_len28_dim1_sp_op_CI_CI
                                        ; -- End function
	.section	.AMDGPU.csdata,"",@progbits
; Kernel info:
; codeLenInByte = 3848
; NumSgprs: 28
; NumVgprs: 66
; NumAgprs: 0
; TotalNumVgprs: 66
; ScratchSize: 0
; MemoryBound: 0
; FloatMode: 240
; IeeeMode: 1
; LDSByteSize: 3584 bytes/workgroup (compile time only)
; SGPRBlocks: 3
; VGPRBlocks: 8
; NumSGPRsForWavesPerEU: 28
; NumVGPRsForWavesPerEU: 66
; AccumOffset: 68
; Occupancy: 7
; WaveLimiterHint : 1
; COMPUTE_PGM_RSRC2:SCRATCH_EN: 0
; COMPUTE_PGM_RSRC2:USER_SGPR: 2
; COMPUTE_PGM_RSRC2:TRAP_HANDLER: 0
; COMPUTE_PGM_RSRC2:TGID_X_EN: 1
; COMPUTE_PGM_RSRC2:TGID_Y_EN: 0
; COMPUTE_PGM_RSRC2:TGID_Z_EN: 0
; COMPUTE_PGM_RSRC2:TIDIG_COMP_CNT: 0
; COMPUTE_PGM_RSRC3_GFX90A:ACCUM_OFFSET: 16
; COMPUTE_PGM_RSRC3_GFX90A:TG_SPLIT: 0
	.text
	.p2alignl 6, 3212836864
	.fill 256, 4, 3212836864
	.type	__hip_cuid_6332416a8a38f992,@object ; @__hip_cuid_6332416a8a38f992
	.section	.bss,"aw",@nobits
	.globl	__hip_cuid_6332416a8a38f992
__hip_cuid_6332416a8a38f992:
	.byte	0                               ; 0x0
	.size	__hip_cuid_6332416a8a38f992, 1

	.ident	"AMD clang version 19.0.0git (https://github.com/RadeonOpenCompute/llvm-project roc-6.4.0 25133 c7fe45cf4b819c5991fe208aaa96edf142730f1d)"
	.section	".note.GNU-stack","",@progbits
	.addrsig
	.addrsig_sym __hip_cuid_6332416a8a38f992
	.amdgpu_metadata
---
amdhsa.kernels:
  - .agpr_count:     0
    .args:
      - .actual_access:  read_only
        .address_space:  global
        .offset:         0
        .size:           8
        .value_kind:     global_buffer
      - .actual_access:  read_only
        .address_space:  global
        .offset:         8
        .size:           8
        .value_kind:     global_buffer
      - .actual_access:  read_only
        .address_space:  global
        .offset:         16
        .size:           8
        .value_kind:     global_buffer
      - .actual_access:  read_only
        .address_space:  global
        .offset:         24
        .size:           8
        .value_kind:     global_buffer
      - .actual_access:  read_only
        .address_space:  global
        .offset:         32
        .size:           8
        .value_kind:     global_buffer
      - .offset:         40
        .size:           8
        .value_kind:     by_value
      - .address_space:  global
        .offset:         48
        .size:           8
        .value_kind:     global_buffer
      - .address_space:  global
        .offset:         56
        .size:           8
        .value_kind:     global_buffer
      - .address_space:  global
        .offset:         64
        .size:           8
        .value_kind:     global_buffer
      - .address_space:  global
        .offset:         72
        .size:           8
        .value_kind:     global_buffer
      - .offset:         80
        .size:           4
        .value_kind:     by_value
      - .address_space:  global
        .offset:         88
        .size:           8
        .value_kind:     global_buffer
      - .address_space:  global
        .offset:         96
        .size:           8
        .value_kind:     global_buffer
    .group_segment_fixed_size: 3584
    .kernarg_segment_align: 8
    .kernarg_segment_size: 104
    .language:       OpenCL C
    .language_version:
      - 2
      - 0
    .max_flat_workgroup_size: 64
    .name:           bluestein_single_fwd_len28_dim1_sp_op_CI_CI
    .private_segment_fixed_size: 0
    .sgpr_count:     28
    .sgpr_spill_count: 0
    .symbol:         bluestein_single_fwd_len28_dim1_sp_op_CI_CI.kd
    .uniform_work_group_size: 1
    .uses_dynamic_stack: false
    .vgpr_count:     66
    .vgpr_spill_count: 0
    .wavefront_size: 64
amdhsa.target:   amdgcn-amd-amdhsa--gfx950
amdhsa.version:
  - 1
  - 2
...

	.end_amdgpu_metadata
